;; amdgpu-corpus repo=ROCm/hip-tests kind=compiled arch=gfx950 opt=O3
	.amdgcn_target "amdgcn-amd-amdhsa--gfx950"
	.amdhsa_code_object_version 6
	.section	.text._Z16float_mad_kernelIfEvPjjT_S1_S1_S1_j,"axG",@progbits,_Z16float_mad_kernelIfEvPjjT_S1_S1_S1_j,comdat
	.protected	_Z16float_mad_kernelIfEvPjjT_S1_S1_S1_j ; -- Begin function _Z16float_mad_kernelIfEvPjjT_S1_S1_S1_j
	.globl	_Z16float_mad_kernelIfEvPjjT_S1_S1_S1_j
	.p2align	8
	.type	_Z16float_mad_kernelIfEvPjjT_S1_S1_S1_j,@function
_Z16float_mad_kernelIfEvPjjT_S1_S1_S1_j: ; @_Z16float_mad_kernelIfEvPjjT_S1_S1_S1_j
; %bb.0:
	s_load_dwordx4 s[12:15], s[0:1], 0x8
	s_load_dwordx2 s[4:5], s[0:1], 0x18
	s_load_dword s3, s[0:1], 0x2c
	s_mov_b32 s8, 0
	v_mov_b32_e32 v6, 0
	s_waitcnt lgkmcnt(0)
	v_cvt_f32_u32_e32 v1, s12
	s_sub_i32 s6, 0, s12
	s_and_b32 s3, s3, 0xffff
	s_mul_i32 s2, s2, s3
	v_rcp_iflag_f32_e32 v1, v1
	v_add_u32_e32 v0, s2, v0
	s_mov_b32 s2, s15
	s_mov_b32 s3, s4
	v_mul_f32_e32 v1, 0x4f7ffffe, v1
	v_cvt_u32_f32_e32 v1, v1
	v_mov_b32_e32 v4, s13
	v_mov_b32_e32 v5, s14
	s_cmp_lg_u32 s5, 0
	v_mul_lo_u32 v2, s6, v1
	v_mul_hi_u32 v2, v1, v2
	v_add_u32_e32 v1, v1, v2
	v_mul_hi_u32 v1, v0, v1
	v_mul_lo_u32 v2, v1, s12
	v_sub_u32_e32 v2, v0, v2
	v_add_u32_e32 v3, 1, v1
	v_cmp_le_u32_e32 vcc, s12, v2
	s_nop 1
	v_cndmask_b32_e32 v1, v1, v3, vcc
	v_subrev_u32_e32 v3, s12, v2
	v_cndmask_b32_e32 v2, v2, v3, vcc
	v_add_u32_e32 v3, 1, v1
	v_cmp_le_u32_e32 vcc, s12, v2
	s_nop 1
	v_cndmask_b32_e32 v1, v1, v3, vcc
	v_mul_lo_u32 v2, v1, s12
	v_sub_u32_e32 v2, v0, v2
	v_cvt_f32_i32_e32 v3, v1
	v_cvt_f32_i32_e32 v2, v2
	v_pk_fma_f32 v[2:3], s[2:3], v[2:3], v[4:5]
	s_nop 0
	v_pk_mul_f32 v[4:5], v[2:3], v[2:3]
	s_cselect_b64 s[2:3], -1, 0
	v_add_f32_e32 v1, v5, v4
	v_cmp_ge_f32_e32 vcc, 4.0, v1
	s_and_b64 s[6:7], vcc, s[2:3]
	s_and_saveexec_b64 s[2:3], s[6:7]
	s_cbranch_execz .LBB0_4
; %bb.1:
	s_mov_b64 s[6:7], 0
	v_mov_b64_e32 v[4:5], v[2:3]
.LBB0_2:                                ; =>This Inner Loop Header: Depth=1
	v_xor_b32_e32 v6, 0x80000000, v5
	v_fma_f32 v8, v4, v4, v2
	v_add_f32_e32 v7, v4, v4
	v_mov_b32_e32 v9, v3
	v_pk_fma_f32 v[4:5], v[6:7], v[4:5], v[8:9] op_sel:[0,1,0]
	s_add_i32 s8, s8, 1
	v_pk_mul_f32 v[6:7], v[4:5], v[4:5]
	s_cmp_ge_u32 s8, s5
	v_add_f32_e32 v1, v7, v6
	s_cselect_b64 s[10:11], -1, 0
	v_cmp_nge_f32_e32 vcc, 4.0, v1
	s_or_b64 s[10:11], vcc, s[10:11]
	s_and_b64 s[10:11], exec, s[10:11]
	s_or_b64 s[6:7], s[10:11], s[6:7]
	v_mov_b32_e32 v6, s8
	s_andn2_b64 exec, exec, s[6:7]
	s_cbranch_execnz .LBB0_2
; %bb.3:
	s_or_b64 exec, exec, s[6:7]
.LBB0_4:
	s_or_b64 exec, exec, s[2:3]
	s_load_dwordx2 s[0:1], s[0:1], 0x0
	v_ashrrev_i32_e32 v1, 31, v0
	s_waitcnt lgkmcnt(0)
	v_lshl_add_u64 v[0:1], v[0:1], 2, s[0:1]
	global_store_dword v[0:1], v6, off
	s_endpgm
	.section	.rodata,"a",@progbits
	.p2align	6, 0x0
	.amdhsa_kernel _Z16float_mad_kernelIfEvPjjT_S1_S1_S1_j
		.amdhsa_group_segment_fixed_size 0
		.amdhsa_private_segment_fixed_size 0
		.amdhsa_kernarg_size 288
		.amdhsa_user_sgpr_count 2
		.amdhsa_user_sgpr_dispatch_ptr 0
		.amdhsa_user_sgpr_queue_ptr 0
		.amdhsa_user_sgpr_kernarg_segment_ptr 1
		.amdhsa_user_sgpr_dispatch_id 0
		.amdhsa_user_sgpr_kernarg_preload_length 0
		.amdhsa_user_sgpr_kernarg_preload_offset 0
		.amdhsa_user_sgpr_private_segment_size 0
		.amdhsa_uses_dynamic_stack 0
		.amdhsa_enable_private_segment 0
		.amdhsa_system_sgpr_workgroup_id_x 1
		.amdhsa_system_sgpr_workgroup_id_y 0
		.amdhsa_system_sgpr_workgroup_id_z 0
		.amdhsa_system_sgpr_workgroup_info 0
		.amdhsa_system_vgpr_workitem_id 0
		.amdhsa_next_free_vgpr 10
		.amdhsa_next_free_sgpr 16
		.amdhsa_accum_offset 12
		.amdhsa_reserve_vcc 1
		.amdhsa_float_round_mode_32 0
		.amdhsa_float_round_mode_16_64 0
		.amdhsa_float_denorm_mode_32 3
		.amdhsa_float_denorm_mode_16_64 3
		.amdhsa_dx10_clamp 1
		.amdhsa_ieee_mode 1
		.amdhsa_fp16_overflow 0
		.amdhsa_tg_split 0
		.amdhsa_exception_fp_ieee_invalid_op 0
		.amdhsa_exception_fp_denorm_src 0
		.amdhsa_exception_fp_ieee_div_zero 0
		.amdhsa_exception_fp_ieee_overflow 0
		.amdhsa_exception_fp_ieee_underflow 0
		.amdhsa_exception_fp_ieee_inexact 0
		.amdhsa_exception_int_div_zero 0
	.end_amdhsa_kernel
	.section	.text._Z16float_mad_kernelIfEvPjjT_S1_S1_S1_j,"axG",@progbits,_Z16float_mad_kernelIfEvPjjT_S1_S1_S1_j,comdat
.Lfunc_end0:
	.size	_Z16float_mad_kernelIfEvPjjT_S1_S1_S1_j, .Lfunc_end0-_Z16float_mad_kernelIfEvPjjT_S1_S1_S1_j
                                        ; -- End function
	.set _Z16float_mad_kernelIfEvPjjT_S1_S1_S1_j.num_vgpr, 10
	.set _Z16float_mad_kernelIfEvPjjT_S1_S1_S1_j.num_agpr, 0
	.set _Z16float_mad_kernelIfEvPjjT_S1_S1_S1_j.numbered_sgpr, 16
	.set _Z16float_mad_kernelIfEvPjjT_S1_S1_S1_j.num_named_barrier, 0
	.set _Z16float_mad_kernelIfEvPjjT_S1_S1_S1_j.private_seg_size, 0
	.set _Z16float_mad_kernelIfEvPjjT_S1_S1_S1_j.uses_vcc, 1
	.set _Z16float_mad_kernelIfEvPjjT_S1_S1_S1_j.uses_flat_scratch, 0
	.set _Z16float_mad_kernelIfEvPjjT_S1_S1_S1_j.has_dyn_sized_stack, 0
	.set _Z16float_mad_kernelIfEvPjjT_S1_S1_S1_j.has_recursion, 0
	.set _Z16float_mad_kernelIfEvPjjT_S1_S1_S1_j.has_indirect_call, 0
	.section	.AMDGPU.csdata,"",@progbits
; Kernel info:
; codeLenInByte = 376
; TotalNumSgprs: 22
; NumVgprs: 10
; NumAgprs: 0
; TotalNumVgprs: 10
; ScratchSize: 0
; MemoryBound: 0
; FloatMode: 240
; IeeeMode: 1
; LDSByteSize: 0 bytes/workgroup (compile time only)
; SGPRBlocks: 2
; VGPRBlocks: 1
; NumSGPRsForWavesPerEU: 22
; NumVGPRsForWavesPerEU: 10
; AccumOffset: 12
; Occupancy: 8
; WaveLimiterHint : 0
; COMPUTE_PGM_RSRC2:SCRATCH_EN: 0
; COMPUTE_PGM_RSRC2:USER_SGPR: 2
; COMPUTE_PGM_RSRC2:TRAP_HANDLER: 0
; COMPUTE_PGM_RSRC2:TGID_X_EN: 1
; COMPUTE_PGM_RSRC2:TGID_Y_EN: 0
; COMPUTE_PGM_RSRC2:TGID_Z_EN: 0
; COMPUTE_PGM_RSRC2:TIDIG_COMP_CNT: 0
; COMPUTE_PGM_RSRC3_GFX90A:ACCUM_OFFSET: 2
; COMPUTE_PGM_RSRC3_GFX90A:TG_SPLIT: 0
	.section	.text._Z26float_mandel_unroll_kernelIfEvPjjT_S1_S1_S1_j,"axG",@progbits,_Z26float_mandel_unroll_kernelIfEvPjjT_S1_S1_S1_j,comdat
	.protected	_Z26float_mandel_unroll_kernelIfEvPjjT_S1_S1_S1_j ; -- Begin function _Z26float_mandel_unroll_kernelIfEvPjjT_S1_S1_S1_j
	.globl	_Z26float_mandel_unroll_kernelIfEvPjjT_S1_S1_S1_j
	.p2align	8
	.type	_Z26float_mandel_unroll_kernelIfEvPjjT_S1_S1_S1_j,@function
_Z26float_mandel_unroll_kernelIfEvPjjT_S1_S1_S1_j: ; @_Z26float_mandel_unroll_kernelIfEvPjjT_S1_S1_S1_j
; %bb.0:
	s_load_dwordx4 s[8:11], s[0:1], 0x8
	s_load_dwordx2 s[4:5], s[0:1], 0x18
	s_load_dword s3, s[0:1], 0x2c
	s_mov_b32 s16, 0
	v_mov_b32_e32 v8, 0
	s_waitcnt lgkmcnt(0)
	v_cvt_f32_u32_e32 v1, s8
	s_sub_i32 s6, 0, s8
	s_and_b32 s3, s3, 0xffff
	s_mul_i32 s2, s2, s3
	v_rcp_iflag_f32_e32 v1, v1
	v_add_u32_e32 v0, s2, v0
	s_mov_b32 s2, s11
	s_mov_b32 s3, s4
	v_mul_f32_e32 v1, 0x4f7ffffe, v1
	v_cvt_u32_f32_e32 v1, v1
	v_mov_b32_e32 v4, s9
	v_mov_b32_e32 v5, s10
	s_cmp_eq_u32 s5, 0
	v_mul_lo_u32 v2, s6, v1
	v_mul_hi_u32 v2, v1, v2
	v_add_u32_e32 v1, v1, v2
	v_mul_hi_u32 v1, v0, v1
	v_mul_lo_u32 v2, v1, s8
	v_sub_u32_e32 v2, v0, v2
	v_add_u32_e32 v3, 1, v1
	v_cmp_le_u32_e32 vcc, s8, v2
	s_nop 1
	v_cndmask_b32_e32 v1, v1, v3, vcc
	v_subrev_u32_e32 v3, s8, v2
	v_cndmask_b32_e32 v2, v2, v3, vcc
	v_add_u32_e32 v3, 1, v1
	v_cmp_le_u32_e32 vcc, s8, v2
	s_nop 1
	v_cndmask_b32_e32 v1, v1, v3, vcc
	v_mul_lo_u32 v2, v1, s8
	v_sub_u32_e32 v2, v0, v2
	v_cvt_f32_i32_e32 v3, v1
	v_cvt_f32_i32_e32 v2, v2
	v_pk_fma_f32 v[2:3], s[2:3], v[2:3], v[4:5]
	s_nop 0
	v_pk_mul_f32 v[4:5], v[2:3], v[2:3]
	s_nop 0
	v_add_f32_e32 v1, v4, v5
	v_cmp_nge_f32_e64 s[6:7], 4.0, v1
	s_cbranch_scc1 .LBB1_6
; %bb.1:
	s_mov_b64 s[8:9], 0
	v_mov_b64_e32 v[4:5], v[2:3]
                                        ; implicit-def: $sgpr6_sgpr7
                                        ; implicit-def: $sgpr12_sgpr13
                                        ; implicit-def: $sgpr10_sgpr11
	s_branch .LBB1_3
.LBB1_2:                                ;   in Loop: Header=BB1_3 Depth=1
	s_or_b64 exec, exec, s[14:15]
	s_and_b64 s[2:3], exec, s[12:13]
	s_or_b64 s[8:9], s[2:3], s[8:9]
	v_cndmask_b32_e64 v1, 16, 0, vcc
	s_andn2_b64 s[2:3], s[6:7], exec
	s_and_b64 s[6:7], s[10:11], exec
	v_add_u32_e32 v8, v1, v8
	s_or_b64 s[6:7], s[2:3], s[6:7]
	s_andn2_b64 exec, exec, s[8:9]
	s_cbranch_execz .LBB1_5
.LBB1_3:                                ; =>This Inner Loop Header: Depth=1
	v_fma_f32 v1, v4, v4, v2
	v_fma_f32 v1, -v5, v5, v1
	v_add_f32_e32 v6, v4, v4
	v_fma_f32 v6, v6, v5, v3
	v_fma_f32 v7, v1, v1, v2
	v_fma_f32 v7, -v6, v6, v7
	v_add_f32_e32 v1, v1, v1
	v_fma_f32 v1, v1, v6, v3
	;; [unrolled: 4-line block ×15, first 2 shown]
	v_xor_b32_e32 v10, 0x80000000, v6
	v_fma_f32 v12, v9, v9, v2
	v_add_f32_e32 v11, v9, v9
	v_mov_b32_e32 v13, v3
	v_pk_fma_f32 v[6:7], v[10:11], v[6:7], v[12:13] op_sel_hi:[1,0,1]
	s_or_b64 s[10:11], s[10:11], exec
	v_pk_mul_f32 v[10:11], v[6:7], v[6:7]
	s_or_b64 s[12:13], s[12:13], exec
	v_add_f32_e32 v1, v10, v11
	v_cmp_ge_f32_e64 s[2:3], 4.0, v1
	v_cmp_nge_f32_e32 vcc, 4.0, v1
	s_and_saveexec_b64 s[14:15], s[2:3]
	s_cbranch_execz .LBB1_2
; %bb.4:                                ;   in Loop: Header=BB1_3 Depth=1
	s_add_i32 s16, s16, 16
	s_cmp_ge_u32 s16, s5
	s_cselect_b64 s[2:3], -1, 0
	s_andn2_b64 s[12:13], s[12:13], exec
	s_and_b64 s[2:3], s[2:3], exec
	s_andn2_b64 s[10:11], s[10:11], exec
	s_or_b64 s[12:13], s[12:13], s[2:3]
	v_mov_b64_e32 v[4:5], v[6:7]
	s_branch .LBB1_2
.LBB1_5:
	s_or_b64 exec, exec, s[8:9]
	s_and_saveexec_b64 s[8:9], s[6:7]
	s_cbranch_execnz .LBB1_7
	s_branch .LBB1_10
.LBB1_6:
	v_mov_b64_e32 v[4:5], v[2:3]
	s_and_saveexec_b64 s[8:9], s[6:7]
	s_cbranch_execz .LBB1_10
.LBB1_7:
	s_mov_b32 s4, -15
	s_mov_b64 s[6:7], 0
.LBB1_8:                                ; =>This Inner Loop Header: Depth=1
	v_pk_mul_f32 v[6:7], v[4:5], v[4:5]
	v_cmp_gt_u32_e32 vcc, s5, v8
	v_add_f32_e32 v1, v6, v7
	v_cmp_ge_f32_e64 s[2:3], 4.0, v1
	s_and_b64 vcc, s[2:3], vcc
	v_addc_co_u32_e64 v8, s[2:3], 0, v8, vcc
	s_xor_b64 s[2:3], vcc, -1
	s_cmp_eq_u32 s4, 0
	s_cselect_b64 s[10:11], -1, 0
	v_xor_b32_e32 v10, 0x80000000, v5
	v_fma_f32 v12, v4, v4, v2
	v_add_f32_e32 v11, v4, v4
	v_mov_b32_e32 v13, v3
	s_add_i32 s4, s4, 1
	s_or_b64 s[2:3], s[2:3], s[10:11]
	v_pk_fma_f32 v[6:7], v[10:11], v[4:5], v[12:13] op_sel:[0,1,0]
	s_and_b64 s[2:3], exec, s[2:3]
	v_cndmask_b32_e32 v5, v5, v7, vcc
	s_or_b64 s[6:7], s[2:3], s[6:7]
	v_cndmask_b32_e32 v4, v4, v6, vcc
	s_andn2_b64 exec, exec, s[6:7]
	s_cbranch_execnz .LBB1_8
; %bb.9:
	s_or_b64 exec, exec, s[6:7]
.LBB1_10:
	s_or_b64 exec, exec, s[8:9]
	s_load_dwordx2 s[0:1], s[0:1], 0x0
	v_ashrrev_i32_e32 v1, 31, v0
	s_waitcnt lgkmcnt(0)
	v_lshl_add_u64 v[0:1], v[0:1], 2, s[0:1]
	global_store_dword v[0:1], v8, off
	s_endpgm
	.section	.rodata,"a",@progbits
	.p2align	6, 0x0
	.amdhsa_kernel _Z26float_mandel_unroll_kernelIfEvPjjT_S1_S1_S1_j
		.amdhsa_group_segment_fixed_size 0
		.amdhsa_private_segment_fixed_size 0
		.amdhsa_kernarg_size 288
		.amdhsa_user_sgpr_count 2
		.amdhsa_user_sgpr_dispatch_ptr 0
		.amdhsa_user_sgpr_queue_ptr 0
		.amdhsa_user_sgpr_kernarg_segment_ptr 1
		.amdhsa_user_sgpr_dispatch_id 0
		.amdhsa_user_sgpr_kernarg_preload_length 0
		.amdhsa_user_sgpr_kernarg_preload_offset 0
		.amdhsa_user_sgpr_private_segment_size 0
		.amdhsa_uses_dynamic_stack 0
		.amdhsa_enable_private_segment 0
		.amdhsa_system_sgpr_workgroup_id_x 1
		.amdhsa_system_sgpr_workgroup_id_y 0
		.amdhsa_system_sgpr_workgroup_id_z 0
		.amdhsa_system_sgpr_workgroup_info 0
		.amdhsa_system_vgpr_workitem_id 0
		.amdhsa_next_free_vgpr 14
		.amdhsa_next_free_sgpr 17
		.amdhsa_accum_offset 16
		.amdhsa_reserve_vcc 1
		.amdhsa_float_round_mode_32 0
		.amdhsa_float_round_mode_16_64 0
		.amdhsa_float_denorm_mode_32 3
		.amdhsa_float_denorm_mode_16_64 3
		.amdhsa_dx10_clamp 1
		.amdhsa_ieee_mode 1
		.amdhsa_fp16_overflow 0
		.amdhsa_tg_split 0
		.amdhsa_exception_fp_ieee_invalid_op 0
		.amdhsa_exception_fp_denorm_src 0
		.amdhsa_exception_fp_ieee_div_zero 0
		.amdhsa_exception_fp_ieee_overflow 0
		.amdhsa_exception_fp_ieee_underflow 0
		.amdhsa_exception_fp_ieee_inexact 0
		.amdhsa_exception_int_div_zero 0
	.end_amdhsa_kernel
	.section	.text._Z26float_mandel_unroll_kernelIfEvPjjT_S1_S1_S1_j,"axG",@progbits,_Z26float_mandel_unroll_kernelIfEvPjjT_S1_S1_S1_j,comdat
.Lfunc_end1:
	.size	_Z26float_mandel_unroll_kernelIfEvPjjT_S1_S1_S1_j, .Lfunc_end1-_Z26float_mandel_unroll_kernelIfEvPjjT_S1_S1_S1_j
                                        ; -- End function
	.set _Z26float_mandel_unroll_kernelIfEvPjjT_S1_S1_S1_j.num_vgpr, 14
	.set _Z26float_mandel_unroll_kernelIfEvPjjT_S1_S1_S1_j.num_agpr, 0
	.set _Z26float_mandel_unroll_kernelIfEvPjjT_S1_S1_S1_j.numbered_sgpr, 17
	.set _Z26float_mandel_unroll_kernelIfEvPjjT_S1_S1_S1_j.num_named_barrier, 0
	.set _Z26float_mandel_unroll_kernelIfEvPjjT_S1_S1_S1_j.private_seg_size, 0
	.set _Z26float_mandel_unroll_kernelIfEvPjjT_S1_S1_S1_j.uses_vcc, 1
	.set _Z26float_mandel_unroll_kernelIfEvPjjT_S1_S1_S1_j.uses_flat_scratch, 0
	.set _Z26float_mandel_unroll_kernelIfEvPjjT_S1_S1_S1_j.has_dyn_sized_stack, 0
	.set _Z26float_mandel_unroll_kernelIfEvPjjT_S1_S1_S1_j.has_recursion, 0
	.set _Z26float_mandel_unroll_kernelIfEvPjjT_S1_S1_S1_j.has_indirect_call, 0
	.section	.AMDGPU.csdata,"",@progbits
; Kernel info:
; codeLenInByte = 1012
; TotalNumSgprs: 23
; NumVgprs: 14
; NumAgprs: 0
; TotalNumVgprs: 14
; ScratchSize: 0
; MemoryBound: 0
; FloatMode: 240
; IeeeMode: 1
; LDSByteSize: 0 bytes/workgroup (compile time only)
; SGPRBlocks: 2
; VGPRBlocks: 1
; NumSGPRsForWavesPerEU: 23
; NumVGPRsForWavesPerEU: 14
; AccumOffset: 16
; Occupancy: 8
; WaveLimiterHint : 0
; COMPUTE_PGM_RSRC2:SCRATCH_EN: 0
; COMPUTE_PGM_RSRC2:USER_SGPR: 2
; COMPUTE_PGM_RSRC2:TRAP_HANDLER: 0
; COMPUTE_PGM_RSRC2:TGID_X_EN: 1
; COMPUTE_PGM_RSRC2:TGID_Y_EN: 0
; COMPUTE_PGM_RSRC2:TGID_Z_EN: 0
; COMPUTE_PGM_RSRC2:TIDIG_COMP_CNT: 0
; COMPUTE_PGM_RSRC3_GFX90A:ACCUM_OFFSET: 3
; COMPUTE_PGM_RSRC3_GFX90A:TG_SPLIT: 0
	.section	.text._Z17double_mad_kernelIdEvPjjT_S1_S1_S1_j,"axG",@progbits,_Z17double_mad_kernelIdEvPjjT_S1_S1_S1_j,comdat
	.protected	_Z17double_mad_kernelIdEvPjjT_S1_S1_S1_j ; -- Begin function _Z17double_mad_kernelIdEvPjjT_S1_S1_S1_j
	.globl	_Z17double_mad_kernelIdEvPjjT_S1_S1_S1_j
	.p2align	8
	.type	_Z17double_mad_kernelIdEvPjjT_S1_S1_S1_j,@function
_Z17double_mad_kernelIdEvPjjT_S1_S1_S1_j: ; @_Z17double_mad_kernelIdEvPjjT_S1_S1_S1_j
; %bb.0:
	s_load_dword s3, s[0:1], 0x8
	s_load_dwordx8 s[4:11], s[0:1], 0x10
	s_load_dword s12, s[0:1], 0x30
	s_load_dword s13, s[0:1], 0x44
	v_mov_b32_e32 v10, 0
	s_waitcnt lgkmcnt(0)
	v_cvt_f32_u32_e32 v1, s3
	v_mov_b32_e32 v2, s4
	v_mov_b32_e32 v3, s5
	s_and_b32 s4, s13, 0xffff
	v_rcp_iflag_f32_e32 v1, v1
	s_mul_i32 s2, s2, s4
	v_add_u32_e32 v0, s2, v0
	s_sub_i32 s2, 0, s3
	v_mul_f32_e32 v1, 0x4f7ffffe, v1
	v_cvt_u32_f32_e32 v1, v1
	v_mov_b32_e32 v4, s6
	v_mov_b32_e32 v5, s7
	s_cmp_lg_u32 s12, 0
	v_mul_lo_u32 v6, s2, v1
	v_mul_hi_u32 v6, v1, v6
	v_add_u32_e32 v1, v1, v6
	v_mul_hi_u32 v1, v0, v1
	v_mul_lo_u32 v6, v1, s3
	v_sub_u32_e32 v6, v0, v6
	v_add_u32_e32 v7, 1, v1
	v_cmp_le_u32_e32 vcc, s3, v6
	s_mov_b32 s6, 0
	s_nop 0
	v_cndmask_b32_e32 v1, v1, v7, vcc
	v_subrev_u32_e32 v7, s3, v6
	v_cndmask_b32_e32 v6, v6, v7, vcc
	v_add_u32_e32 v7, 1, v1
	v_cmp_le_u32_e32 vcc, s3, v6
	s_nop 1
	v_cndmask_b32_e32 v1, v1, v7, vcc
	v_mul_lo_u32 v6, v1, s3
	v_sub_u32_e32 v6, v0, v6
	v_cvt_f64_i32_e32 v[6:7], v6
	v_fmac_f64_e32 v[2:3], s[8:9], v[6:7]
	v_cvt_f64_i32_e32 v[6:7], v1
	v_fmac_f64_e32 v[4:5], s[10:11], v[6:7]
	v_mul_f64 v[6:7], v[2:3], v[2:3]
	v_fmac_f64_e32 v[6:7], v[4:5], v[4:5]
	v_cmp_ge_f64_e32 vcc, 4.0, v[6:7]
	s_cselect_b64 s[2:3], -1, 0
	s_and_b64 s[4:5], vcc, s[2:3]
	s_and_saveexec_b64 s[2:3], s[4:5]
	s_cbranch_execz .LBB2_4
; %bb.1:
	s_mov_b64 s[4:5], 0
	v_mov_b64_e32 v[8:9], v[2:3]
	v_mov_b64_e32 v[6:7], v[4:5]
.LBB2_2:                                ; =>This Inner Loop Header: Depth=1
	v_fma_f64 v[10:11], v[8:9], v[8:9], v[2:3]
	v_add_f64 v[8:9], v[8:9], v[8:9]
	v_fma_f64 v[12:13], -v[6:7], v[6:7], v[10:11]
	s_add_i32 s6, s6, 1
	v_fma_f64 v[6:7], v[8:9], v[6:7], v[4:5]
	v_mul_f64 v[8:9], v[12:13], v[12:13]
	s_cmp_ge_u32 s6, s12
	v_fmac_f64_e32 v[8:9], v[6:7], v[6:7]
	s_cselect_b64 s[8:9], -1, 0
	v_cmp_nge_f64_e32 vcc, 4.0, v[8:9]
	s_or_b64 s[8:9], vcc, s[8:9]
	s_and_b64 s[8:9], exec, s[8:9]
	v_mov_b32_e32 v10, s6
	s_or_b64 s[4:5], s[8:9], s[4:5]
	v_mov_b64_e32 v[8:9], v[12:13]
	s_andn2_b64 exec, exec, s[4:5]
	s_cbranch_execnz .LBB2_2
; %bb.3:
	s_or_b64 exec, exec, s[4:5]
.LBB2_4:
	s_or_b64 exec, exec, s[2:3]
	s_load_dwordx2 s[0:1], s[0:1], 0x0
	v_ashrrev_i32_e32 v1, 31, v0
	s_waitcnt lgkmcnt(0)
	v_lshl_add_u64 v[0:1], v[0:1], 2, s[0:1]
	global_store_dword v[0:1], v10, off
	s_endpgm
	.section	.rodata,"a",@progbits
	.p2align	6, 0x0
	.amdhsa_kernel _Z17double_mad_kernelIdEvPjjT_S1_S1_S1_j
		.amdhsa_group_segment_fixed_size 0
		.amdhsa_private_segment_fixed_size 0
		.amdhsa_kernarg_size 312
		.amdhsa_user_sgpr_count 2
		.amdhsa_user_sgpr_dispatch_ptr 0
		.amdhsa_user_sgpr_queue_ptr 0
		.amdhsa_user_sgpr_kernarg_segment_ptr 1
		.amdhsa_user_sgpr_dispatch_id 0
		.amdhsa_user_sgpr_kernarg_preload_length 0
		.amdhsa_user_sgpr_kernarg_preload_offset 0
		.amdhsa_user_sgpr_private_segment_size 0
		.amdhsa_uses_dynamic_stack 0
		.amdhsa_enable_private_segment 0
		.amdhsa_system_sgpr_workgroup_id_x 1
		.amdhsa_system_sgpr_workgroup_id_y 0
		.amdhsa_system_sgpr_workgroup_id_z 0
		.amdhsa_system_sgpr_workgroup_info 0
		.amdhsa_system_vgpr_workitem_id 0
		.amdhsa_next_free_vgpr 14
		.amdhsa_next_free_sgpr 14
		.amdhsa_accum_offset 16
		.amdhsa_reserve_vcc 1
		.amdhsa_float_round_mode_32 0
		.amdhsa_float_round_mode_16_64 0
		.amdhsa_float_denorm_mode_32 3
		.amdhsa_float_denorm_mode_16_64 3
		.amdhsa_dx10_clamp 1
		.amdhsa_ieee_mode 1
		.amdhsa_fp16_overflow 0
		.amdhsa_tg_split 0
		.amdhsa_exception_fp_ieee_invalid_op 0
		.amdhsa_exception_fp_denorm_src 0
		.amdhsa_exception_fp_ieee_div_zero 0
		.amdhsa_exception_fp_ieee_overflow 0
		.amdhsa_exception_fp_ieee_underflow 0
		.amdhsa_exception_fp_ieee_inexact 0
		.amdhsa_exception_int_div_zero 0
	.end_amdhsa_kernel
	.section	.text._Z17double_mad_kernelIdEvPjjT_S1_S1_S1_j,"axG",@progbits,_Z17double_mad_kernelIdEvPjjT_S1_S1_S1_j,comdat
.Lfunc_end2:
	.size	_Z17double_mad_kernelIdEvPjjT_S1_S1_S1_j, .Lfunc_end2-_Z17double_mad_kernelIdEvPjjT_S1_S1_S1_j
                                        ; -- End function
	.set _Z17double_mad_kernelIdEvPjjT_S1_S1_S1_j.num_vgpr, 14
	.set _Z17double_mad_kernelIdEvPjjT_S1_S1_S1_j.num_agpr, 0
	.set _Z17double_mad_kernelIdEvPjjT_S1_S1_S1_j.numbered_sgpr, 14
	.set _Z17double_mad_kernelIdEvPjjT_S1_S1_S1_j.num_named_barrier, 0
	.set _Z17double_mad_kernelIdEvPjjT_S1_S1_S1_j.private_seg_size, 0
	.set _Z17double_mad_kernelIdEvPjjT_S1_S1_S1_j.uses_vcc, 1
	.set _Z17double_mad_kernelIdEvPjjT_S1_S1_S1_j.uses_flat_scratch, 0
	.set _Z17double_mad_kernelIdEvPjjT_S1_S1_S1_j.has_dyn_sized_stack, 0
	.set _Z17double_mad_kernelIdEvPjjT_S1_S1_S1_j.has_recursion, 0
	.set _Z17double_mad_kernelIdEvPjjT_S1_S1_S1_j.has_indirect_call, 0
	.section	.AMDGPU.csdata,"",@progbits
; Kernel info:
; codeLenInByte = 388
; TotalNumSgprs: 20
; NumVgprs: 14
; NumAgprs: 0
; TotalNumVgprs: 14
; ScratchSize: 0
; MemoryBound: 0
; FloatMode: 240
; IeeeMode: 1
; LDSByteSize: 0 bytes/workgroup (compile time only)
; SGPRBlocks: 2
; VGPRBlocks: 1
; NumSGPRsForWavesPerEU: 20
; NumVGPRsForWavesPerEU: 14
; AccumOffset: 16
; Occupancy: 8
; WaveLimiterHint : 0
; COMPUTE_PGM_RSRC2:SCRATCH_EN: 0
; COMPUTE_PGM_RSRC2:USER_SGPR: 2
; COMPUTE_PGM_RSRC2:TRAP_HANDLER: 0
; COMPUTE_PGM_RSRC2:TGID_X_EN: 1
; COMPUTE_PGM_RSRC2:TGID_Y_EN: 0
; COMPUTE_PGM_RSRC2:TGID_Z_EN: 0
; COMPUTE_PGM_RSRC2:TIDIG_COMP_CNT: 0
; COMPUTE_PGM_RSRC3_GFX90A:ACCUM_OFFSET: 3
; COMPUTE_PGM_RSRC3_GFX90A:TG_SPLIT: 0
	.section	.text._Z26float_mandel_unroll_kernelIdEvPjjT_S1_S1_S1_j,"axG",@progbits,_Z26float_mandel_unroll_kernelIdEvPjjT_S1_S1_S1_j,comdat
	.protected	_Z26float_mandel_unroll_kernelIdEvPjjT_S1_S1_S1_j ; -- Begin function _Z26float_mandel_unroll_kernelIdEvPjjT_S1_S1_S1_j
	.globl	_Z26float_mandel_unroll_kernelIdEvPjjT_S1_S1_S1_j
	.p2align	8
	.type	_Z26float_mandel_unroll_kernelIdEvPjjT_S1_S1_S1_j,@function
_Z26float_mandel_unroll_kernelIdEvPjjT_S1_S1_S1_j: ; @_Z26float_mandel_unroll_kernelIdEvPjjT_S1_S1_S1_j
; %bb.0:
	s_load_dword s3, s[0:1], 0x8
	s_load_dword s12, s[0:1], 0x44
	;; [unrolled: 1-line block ×3, first 2 shown]
	s_load_dwordx8 s[4:11], s[0:1], 0x10
	s_mov_b32 s15, 0
	s_waitcnt lgkmcnt(0)
	v_cvt_f32_u32_e32 v1, s3
	s_sub_i32 s13, 0, s3
	s_and_b32 s12, s12, 0xffff
	s_mul_i32 s2, s2, s12
	v_rcp_iflag_f32_e32 v1, v1
	v_add_u32_e32 v0, s2, v0
	v_mov_b32_e32 v6, s4
	v_mov_b32_e32 v7, s5
	v_mul_f32_e32 v1, 0x4f7ffffe, v1
	v_cvt_u32_f32_e32 v1, v1
	s_cmp_eq_u32 s14, 0
	v_mov_b32_e32 v8, 0
	v_mul_lo_u32 v2, s13, v1
	v_mul_hi_u32 v2, v1, v2
	v_add_u32_e32 v1, v1, v2
	v_mul_hi_u32 v1, v0, v1
	v_mul_lo_u32 v2, v1, s3
	v_sub_u32_e32 v2, v0, v2
	v_add_u32_e32 v3, 1, v1
	v_cmp_le_u32_e32 vcc, s3, v2
	s_nop 1
	v_cndmask_b32_e32 v1, v1, v3, vcc
	v_subrev_u32_e32 v3, s3, v2
	v_cndmask_b32_e32 v2, v2, v3, vcc
	v_add_u32_e32 v3, 1, v1
	v_cmp_le_u32_e32 vcc, s3, v2
	s_nop 1
	v_cndmask_b32_e32 v1, v1, v3, vcc
	v_mul_lo_u32 v2, v1, s3
	v_sub_u32_e32 v2, v0, v2
	v_cvt_f32_i32_e32 v4, v2
	v_cvt_f32_i32_e32 v1, v1
	v_cvt_f64_f32_e32 v[4:5], v4
	v_cvt_f64_f32_e32 v[2:3], v1
	v_fmac_f64_e32 v[6:7], s[8:9], v[4:5]
	v_mov_b32_e32 v4, s6
	v_mov_b32_e32 v5, s7
	v_fmac_f64_e32 v[4:5], s[10:11], v[2:3]
	v_cvt_f32_f64_e32 v1, v[6:7]
	v_cvt_f32_f64_e32 v3, v[4:5]
	v_mov_b32_e32 v2, v1
	v_pk_mul_f32 v[4:5], v[2:3], v[2:3]
	s_nop 0
	v_add_f32_e32 v4, v4, v5
	v_cmp_nge_f32_e64 s[4:5], 4.0, v4
	s_cbranch_scc1 .LBB3_6
; %bb.1:
	s_mov_b64 s[6:7], 0
	v_mov_b64_e32 v[4:5], v[2:3]
                                        ; implicit-def: $sgpr4_sgpr5
                                        ; implicit-def: $sgpr10_sgpr11
                                        ; implicit-def: $sgpr8_sgpr9
	s_branch .LBB3_3
.LBB3_2:                                ;   in Loop: Header=BB3_3 Depth=1
	s_or_b64 exec, exec, s[12:13]
	s_and_b64 s[2:3], exec, s[10:11]
	s_or_b64 s[6:7], s[2:3], s[6:7]
	v_cndmask_b32_e64 v2, 16, 0, vcc
	s_andn2_b64 s[2:3], s[4:5], exec
	s_and_b64 s[4:5], s[8:9], exec
	v_add_u32_e32 v8, v2, v8
	s_or_b64 s[4:5], s[2:3], s[4:5]
	s_andn2_b64 exec, exec, s[6:7]
	s_cbranch_execz .LBB3_5
.LBB3_3:                                ; =>This Inner Loop Header: Depth=1
	v_fma_f32 v2, v4, v4, v1
	v_fma_f32 v2, -v5, v5, v2
	v_add_f32_e32 v6, v4, v4
	v_fma_f32 v6, v6, v5, v3
	v_fma_f32 v7, v2, v2, v1
	v_fma_f32 v7, -v6, v6, v7
	v_add_f32_e32 v2, v2, v2
	v_fma_f32 v2, v2, v6, v3
	;; [unrolled: 4-line block ×15, first 2 shown]
	v_xor_b32_e32 v10, 0x80000000, v6
	v_fma_f32 v2, v9, v9, v1
	v_add_f32_e32 v11, v9, v9
	v_pk_fma_f32 v[6:7], v[10:11], v[6:7], v[2:3] op_sel_hi:[1,0,1]
	s_or_b64 s[8:9], s[8:9], exec
	v_pk_mul_f32 v[10:11], v[6:7], v[6:7]
	s_or_b64 s[10:11], s[10:11], exec
	v_add_f32_e32 v2, v10, v11
	v_cmp_ge_f32_e64 s[2:3], 4.0, v2
	v_cmp_nge_f32_e32 vcc, 4.0, v2
	s_and_saveexec_b64 s[12:13], s[2:3]
	s_cbranch_execz .LBB3_2
; %bb.4:                                ;   in Loop: Header=BB3_3 Depth=1
	s_add_i32 s15, s15, 16
	s_cmp_ge_u32 s15, s14
	s_cselect_b64 s[2:3], -1, 0
	s_andn2_b64 s[10:11], s[10:11], exec
	s_and_b64 s[2:3], s[2:3], exec
	s_andn2_b64 s[8:9], s[8:9], exec
	s_or_b64 s[10:11], s[10:11], s[2:3]
	v_mov_b64_e32 v[4:5], v[6:7]
	s_branch .LBB3_2
.LBB3_5:
	s_or_b64 exec, exec, s[6:7]
	s_and_saveexec_b64 s[6:7], s[4:5]
	s_cbranch_execnz .LBB3_7
	s_branch .LBB3_10
.LBB3_6:
	v_mov_b64_e32 v[4:5], v[2:3]
	s_and_saveexec_b64 s[6:7], s[4:5]
	s_cbranch_execz .LBB3_10
.LBB3_7:
	s_mov_b32 s8, -15
	s_mov_b64 s[4:5], 0
.LBB3_8:                                ; =>This Inner Loop Header: Depth=1
	v_mul_f32_e32 v2, v5, v5
	v_fmac_f32_e32 v2, v4, v4
	v_cmp_gt_u32_e32 vcc, s14, v8
	v_cmp_ge_f32_e64 s[2:3], 4.0, v2
	s_and_b64 vcc, s[2:3], vcc
	v_addc_co_u32_e64 v8, s[2:3], 0, v8, vcc
	s_xor_b64 s[2:3], vcc, -1
	s_cmp_eq_u32 s8, 0
	s_cselect_b64 s[10:11], -1, 0
	v_fma_f32 v6, v4, v4, v1
	v_add_f32_e32 v7, v4, v4
	s_add_i32 s8, s8, 1
	s_or_b64 s[2:3], s[2:3], s[10:11]
	v_fma_f32 v6, -v5, v5, v6
	v_fma_f32 v7, v7, v5, v3
	s_and_b64 s[2:3], exec, s[2:3]
	v_cndmask_b32_e32 v4, v4, v6, vcc
	s_or_b64 s[4:5], s[2:3], s[4:5]
	v_cndmask_b32_e32 v5, v5, v7, vcc
	s_andn2_b64 exec, exec, s[4:5]
	s_cbranch_execnz .LBB3_8
; %bb.9:
	s_or_b64 exec, exec, s[4:5]
.LBB3_10:
	s_or_b64 exec, exec, s[6:7]
	s_load_dwordx2 s[0:1], s[0:1], 0x0
	v_ashrrev_i32_e32 v1, 31, v0
	s_waitcnt lgkmcnt(0)
	v_lshl_add_u64 v[0:1], v[0:1], 2, s[0:1]
	global_store_dword v[0:1], v8, off
	s_endpgm
	.section	.rodata,"a",@progbits
	.p2align	6, 0x0
	.amdhsa_kernel _Z26float_mandel_unroll_kernelIdEvPjjT_S1_S1_S1_j
		.amdhsa_group_segment_fixed_size 0
		.amdhsa_private_segment_fixed_size 0
		.amdhsa_kernarg_size 312
		.amdhsa_user_sgpr_count 2
		.amdhsa_user_sgpr_dispatch_ptr 0
		.amdhsa_user_sgpr_queue_ptr 0
		.amdhsa_user_sgpr_kernarg_segment_ptr 1
		.amdhsa_user_sgpr_dispatch_id 0
		.amdhsa_user_sgpr_kernarg_preload_length 0
		.amdhsa_user_sgpr_kernarg_preload_offset 0
		.amdhsa_user_sgpr_private_segment_size 0
		.amdhsa_uses_dynamic_stack 0
		.amdhsa_enable_private_segment 0
		.amdhsa_system_sgpr_workgroup_id_x 1
		.amdhsa_system_sgpr_workgroup_id_y 0
		.amdhsa_system_sgpr_workgroup_id_z 0
		.amdhsa_system_sgpr_workgroup_info 0
		.amdhsa_system_vgpr_workitem_id 0
		.amdhsa_next_free_vgpr 12
		.amdhsa_next_free_sgpr 16
		.amdhsa_accum_offset 12
		.amdhsa_reserve_vcc 1
		.amdhsa_float_round_mode_32 0
		.amdhsa_float_round_mode_16_64 0
		.amdhsa_float_denorm_mode_32 3
		.amdhsa_float_denorm_mode_16_64 3
		.amdhsa_dx10_clamp 1
		.amdhsa_ieee_mode 1
		.amdhsa_fp16_overflow 0
		.amdhsa_tg_split 0
		.amdhsa_exception_fp_ieee_invalid_op 0
		.amdhsa_exception_fp_denorm_src 0
		.amdhsa_exception_fp_ieee_div_zero 0
		.amdhsa_exception_fp_ieee_overflow 0
		.amdhsa_exception_fp_ieee_underflow 0
		.amdhsa_exception_fp_ieee_inexact 0
		.amdhsa_exception_int_div_zero 0
	.end_amdhsa_kernel
	.section	.text._Z26float_mandel_unroll_kernelIdEvPjjT_S1_S1_S1_j,"axG",@progbits,_Z26float_mandel_unroll_kernelIdEvPjjT_S1_S1_S1_j,comdat
.Lfunc_end3:
	.size	_Z26float_mandel_unroll_kernelIdEvPjjT_S1_S1_S1_j, .Lfunc_end3-_Z26float_mandel_unroll_kernelIdEvPjjT_S1_S1_S1_j
                                        ; -- End function
	.set _Z26float_mandel_unroll_kernelIdEvPjjT_S1_S1_S1_j.num_vgpr, 12
	.set _Z26float_mandel_unroll_kernelIdEvPjjT_S1_S1_S1_j.num_agpr, 0
	.set _Z26float_mandel_unroll_kernelIdEvPjjT_S1_S1_S1_j.numbered_sgpr, 16
	.set _Z26float_mandel_unroll_kernelIdEvPjjT_S1_S1_S1_j.num_named_barrier, 0
	.set _Z26float_mandel_unroll_kernelIdEvPjjT_S1_S1_S1_j.private_seg_size, 0
	.set _Z26float_mandel_unroll_kernelIdEvPjjT_S1_S1_S1_j.uses_vcc, 1
	.set _Z26float_mandel_unroll_kernelIdEvPjjT_S1_S1_S1_j.uses_flat_scratch, 0
	.set _Z26float_mandel_unroll_kernelIdEvPjjT_S1_S1_S1_j.has_dyn_sized_stack, 0
	.set _Z26float_mandel_unroll_kernelIdEvPjjT_S1_S1_S1_j.has_recursion, 0
	.set _Z26float_mandel_unroll_kernelIdEvPjjT_S1_S1_S1_j.has_indirect_call, 0
	.section	.AMDGPU.csdata,"",@progbits
; Kernel info:
; codeLenInByte = 1024
; TotalNumSgprs: 22
; NumVgprs: 12
; NumAgprs: 0
; TotalNumVgprs: 12
; ScratchSize: 0
; MemoryBound: 0
; FloatMode: 240
; IeeeMode: 1
; LDSByteSize: 0 bytes/workgroup (compile time only)
; SGPRBlocks: 2
; VGPRBlocks: 1
; NumSGPRsForWavesPerEU: 22
; NumVGPRsForWavesPerEU: 12
; AccumOffset: 12
; Occupancy: 8
; WaveLimiterHint : 0
; COMPUTE_PGM_RSRC2:SCRATCH_EN: 0
; COMPUTE_PGM_RSRC2:USER_SGPR: 2
; COMPUTE_PGM_RSRC2:TRAP_HANDLER: 0
; COMPUTE_PGM_RSRC2:TGID_X_EN: 1
; COMPUTE_PGM_RSRC2:TGID_Y_EN: 0
; COMPUTE_PGM_RSRC2:TGID_Z_EN: 0
; COMPUTE_PGM_RSRC2:TIDIG_COMP_CNT: 0
; COMPUTE_PGM_RSRC3_GFX90A:ACCUM_OFFSET: 2
; COMPUTE_PGM_RSRC3_GFX90A:TG_SPLIT: 0
	.section	.AMDGPU.gpr_maximums,"",@progbits
	.set amdgpu.max_num_vgpr, 0
	.set amdgpu.max_num_agpr, 0
	.set amdgpu.max_num_sgpr, 0
	.section	.AMDGPU.csdata,"",@progbits
	.type	__hip_cuid_d4b31d4ca31a9b68,@object ; @__hip_cuid_d4b31d4ca31a9b68
	.section	.bss,"aw",@nobits
	.globl	__hip_cuid_d4b31d4ca31a9b68
__hip_cuid_d4b31d4ca31a9b68:
	.byte	0                               ; 0x0
	.size	__hip_cuid_d4b31d4ca31a9b68, 1

	.ident	"AMD clang version 22.0.0git (https://github.com/RadeonOpenCompute/llvm-project roc-7.2.4 26084 f58b06dce1f9c15707c5f808fd002e18c2accf7e)"
	.section	".note.GNU-stack","",@progbits
	.addrsig
	.addrsig_sym __hip_cuid_d4b31d4ca31a9b68
	.amdgpu_metadata
---
amdhsa.kernels:
  - .agpr_count:     0
    .args:
      - .address_space:  global
        .offset:         0
        .size:           8
        .value_kind:     global_buffer
      - .offset:         8
        .size:           4
        .value_kind:     by_value
      - .offset:         12
        .size:           4
        .value_kind:     by_value
      - .offset:         16
        .size:           4
        .value_kind:     by_value
      - .offset:         20
        .size:           4
        .value_kind:     by_value
      - .offset:         24
        .size:           4
        .value_kind:     by_value
      - .offset:         28
        .size:           4
        .value_kind:     by_value
      - .offset:         32
        .size:           4
        .value_kind:     hidden_block_count_x
      - .offset:         36
        .size:           4
        .value_kind:     hidden_block_count_y
      - .offset:         40
        .size:           4
        .value_kind:     hidden_block_count_z
      - .offset:         44
        .size:           2
        .value_kind:     hidden_group_size_x
      - .offset:         46
        .size:           2
        .value_kind:     hidden_group_size_y
      - .offset:         48
        .size:           2
        .value_kind:     hidden_group_size_z
      - .offset:         50
        .size:           2
        .value_kind:     hidden_remainder_x
      - .offset:         52
        .size:           2
        .value_kind:     hidden_remainder_y
      - .offset:         54
        .size:           2
        .value_kind:     hidden_remainder_z
      - .offset:         72
        .size:           8
        .value_kind:     hidden_global_offset_x
      - .offset:         80
        .size:           8
        .value_kind:     hidden_global_offset_y
      - .offset:         88
        .size:           8
        .value_kind:     hidden_global_offset_z
      - .offset:         96
        .size:           2
        .value_kind:     hidden_grid_dims
    .group_segment_fixed_size: 0
    .kernarg_segment_align: 8
    .kernarg_segment_size: 288
    .language:       OpenCL C
    .language_version:
      - 2
      - 0
    .max_flat_workgroup_size: 1024
    .name:           _Z16float_mad_kernelIfEvPjjT_S1_S1_S1_j
    .private_segment_fixed_size: 0
    .sgpr_count:     22
    .sgpr_spill_count: 0
    .symbol:         _Z16float_mad_kernelIfEvPjjT_S1_S1_S1_j.kd
    .uniform_work_group_size: 1
    .uses_dynamic_stack: false
    .vgpr_count:     10
    .vgpr_spill_count: 0
    .wavefront_size: 64
  - .agpr_count:     0
    .args:
      - .address_space:  global
        .offset:         0
        .size:           8
        .value_kind:     global_buffer
      - .offset:         8
        .size:           4
        .value_kind:     by_value
      - .offset:         12
        .size:           4
        .value_kind:     by_value
      - .offset:         16
        .size:           4
        .value_kind:     by_value
      - .offset:         20
        .size:           4
        .value_kind:     by_value
      - .offset:         24
        .size:           4
        .value_kind:     by_value
      - .offset:         28
        .size:           4
        .value_kind:     by_value
      - .offset:         32
        .size:           4
        .value_kind:     hidden_block_count_x
      - .offset:         36
        .size:           4
        .value_kind:     hidden_block_count_y
      - .offset:         40
        .size:           4
        .value_kind:     hidden_block_count_z
      - .offset:         44
        .size:           2
        .value_kind:     hidden_group_size_x
      - .offset:         46
        .size:           2
        .value_kind:     hidden_group_size_y
      - .offset:         48
        .size:           2
        .value_kind:     hidden_group_size_z
      - .offset:         50
        .size:           2
        .value_kind:     hidden_remainder_x
      - .offset:         52
        .size:           2
        .value_kind:     hidden_remainder_y
      - .offset:         54
        .size:           2
        .value_kind:     hidden_remainder_z
      - .offset:         72
        .size:           8
        .value_kind:     hidden_global_offset_x
      - .offset:         80
        .size:           8
        .value_kind:     hidden_global_offset_y
      - .offset:         88
        .size:           8
        .value_kind:     hidden_global_offset_z
      - .offset:         96
        .size:           2
        .value_kind:     hidden_grid_dims
    .group_segment_fixed_size: 0
    .kernarg_segment_align: 8
    .kernarg_segment_size: 288
    .language:       OpenCL C
    .language_version:
      - 2
      - 0
    .max_flat_workgroup_size: 1024
    .name:           _Z26float_mandel_unroll_kernelIfEvPjjT_S1_S1_S1_j
    .private_segment_fixed_size: 0
    .sgpr_count:     23
    .sgpr_spill_count: 0
    .symbol:         _Z26float_mandel_unroll_kernelIfEvPjjT_S1_S1_S1_j.kd
    .uniform_work_group_size: 1
    .uses_dynamic_stack: false
    .vgpr_count:     14
    .vgpr_spill_count: 0
    .wavefront_size: 64
  - .agpr_count:     0
    .args:
      - .address_space:  global
        .offset:         0
        .size:           8
        .value_kind:     global_buffer
      - .offset:         8
        .size:           4
        .value_kind:     by_value
      - .offset:         16
        .size:           8
        .value_kind:     by_value
      - .offset:         24
        .size:           8
        .value_kind:     by_value
      - .offset:         32
        .size:           8
        .value_kind:     by_value
      - .offset:         40
        .size:           8
        .value_kind:     by_value
      - .offset:         48
        .size:           4
        .value_kind:     by_value
      - .offset:         56
        .size:           4
        .value_kind:     hidden_block_count_x
      - .offset:         60
        .size:           4
        .value_kind:     hidden_block_count_y
      - .offset:         64
        .size:           4
        .value_kind:     hidden_block_count_z
      - .offset:         68
        .size:           2
        .value_kind:     hidden_group_size_x
      - .offset:         70
        .size:           2
        .value_kind:     hidden_group_size_y
      - .offset:         72
        .size:           2
        .value_kind:     hidden_group_size_z
      - .offset:         74
        .size:           2
        .value_kind:     hidden_remainder_x
      - .offset:         76
        .size:           2
        .value_kind:     hidden_remainder_y
      - .offset:         78
        .size:           2
        .value_kind:     hidden_remainder_z
      - .offset:         96
        .size:           8
        .value_kind:     hidden_global_offset_x
      - .offset:         104
        .size:           8
        .value_kind:     hidden_global_offset_y
      - .offset:         112
        .size:           8
        .value_kind:     hidden_global_offset_z
      - .offset:         120
        .size:           2
        .value_kind:     hidden_grid_dims
    .group_segment_fixed_size: 0
    .kernarg_segment_align: 8
    .kernarg_segment_size: 312
    .language:       OpenCL C
    .language_version:
      - 2
      - 0
    .max_flat_workgroup_size: 1024
    .name:           _Z17double_mad_kernelIdEvPjjT_S1_S1_S1_j
    .private_segment_fixed_size: 0
    .sgpr_count:     20
    .sgpr_spill_count: 0
    .symbol:         _Z17double_mad_kernelIdEvPjjT_S1_S1_S1_j.kd
    .uniform_work_group_size: 1
    .uses_dynamic_stack: false
    .vgpr_count:     14
    .vgpr_spill_count: 0
    .wavefront_size: 64
  - .agpr_count:     0
    .args:
      - .address_space:  global
        .offset:         0
        .size:           8
        .value_kind:     global_buffer
      - .offset:         8
        .size:           4
        .value_kind:     by_value
      - .offset:         16
        .size:           8
        .value_kind:     by_value
      - .offset:         24
        .size:           8
        .value_kind:     by_value
      - .offset:         32
        .size:           8
        .value_kind:     by_value
      - .offset:         40
        .size:           8
        .value_kind:     by_value
      - .offset:         48
        .size:           4
        .value_kind:     by_value
      - .offset:         56
        .size:           4
        .value_kind:     hidden_block_count_x
      - .offset:         60
        .size:           4
        .value_kind:     hidden_block_count_y
      - .offset:         64
        .size:           4
        .value_kind:     hidden_block_count_z
      - .offset:         68
        .size:           2
        .value_kind:     hidden_group_size_x
      - .offset:         70
        .size:           2
        .value_kind:     hidden_group_size_y
      - .offset:         72
        .size:           2
        .value_kind:     hidden_group_size_z
      - .offset:         74
        .size:           2
        .value_kind:     hidden_remainder_x
      - .offset:         76
        .size:           2
        .value_kind:     hidden_remainder_y
      - .offset:         78
        .size:           2
        .value_kind:     hidden_remainder_z
      - .offset:         96
        .size:           8
        .value_kind:     hidden_global_offset_x
      - .offset:         104
        .size:           8
        .value_kind:     hidden_global_offset_y
      - .offset:         112
        .size:           8
        .value_kind:     hidden_global_offset_z
      - .offset:         120
        .size:           2
        .value_kind:     hidden_grid_dims
    .group_segment_fixed_size: 0
    .kernarg_segment_align: 8
    .kernarg_segment_size: 312
    .language:       OpenCL C
    .language_version:
      - 2
      - 0
    .max_flat_workgroup_size: 1024
    .name:           _Z26float_mandel_unroll_kernelIdEvPjjT_S1_S1_S1_j
    .private_segment_fixed_size: 0
    .sgpr_count:     22
    .sgpr_spill_count: 0
    .symbol:         _Z26float_mandel_unroll_kernelIdEvPjjT_S1_S1_S1_j.kd
    .uniform_work_group_size: 1
    .uses_dynamic_stack: false
    .vgpr_count:     12
    .vgpr_spill_count: 0
    .wavefront_size: 64
amdhsa.target:   amdgcn-amd-amdhsa--gfx950
amdhsa.version:
  - 1
  - 2
...

	.end_amdgpu_metadata
